;; amdgpu-corpus repo=ROCm/MIOpen kind=compiled arch=gfx1250 opt=O3
	.amdgcn_target "amdgcn-amd-amdhsa--gfx1250"
	.amdhsa_code_object_version 6
	.text
	.protected	MultiMarginLossForward2d ; -- Begin function MultiMarginLossForward2d
	.globl	MultiMarginLossForward2d
	.p2align	8
	.type	MultiMarginLossForward2d,@function
MultiMarginLossForward2d:               ; @MultiMarginLossForward2d
; %bb.0:
	s_load_b32 s2, s[0:1], 0x8c
	s_bfe_u32 s12, ttmp6, 0x4000c
	s_load_b256 s[4:11], s[0:1], 0x30
	s_add_co_i32 s12, s12, 1
	s_and_b32 s3, ttmp6, 15
	s_mul_i32 s12, ttmp9, s12
	s_getreg_b32 s13, hwreg(HW_REG_IB_STS2, 6, 4)
	s_add_co_i32 s3, s3, s12
	v_mov_b32_e32 v1, 0
	s_wait_kmcnt 0x0
	s_and_b32 s2, s2, 0xffff
	s_cmp_eq_u32 s13, 0
	s_cselect_b32 s3, ttmp9, s3
	s_delay_alu instid0(SALU_CYCLE_1) | instskip(SKIP_1) | instid1(VALU_DEP_1)
	v_mad_u32 v0, s3, s2, v0
	s_mov_b32 s2, exec_lo
	v_cmpx_gt_u64_e64 s[8:9], v[0:1]
	s_cbranch_execz .LBB0_7
; %bb.1:
	s_load_b64 s[2:3], s[0:1], 0x50
	s_wait_kmcnt 0x0
	v_mul_u64_e32 v[2:3], s[2:3], v[0:1]
	s_load_b64 s[2:3], s[0:1], 0x8
	s_wait_kmcnt 0x0
	s_delay_alu instid0(VALU_DEP_1)
	v_lshl_add_u64 v[2:3], v[2:3], 3, s[2:3]
	global_load_b64 v[2:3], v[2:3], off
	s_wait_loadcnt 0x0
	v_cmp_gt_u64_e32 vcc_lo, s[10:11], v[2:3]
	s_and_b32 exec_lo, exec_lo, vcc_lo
	s_cbranch_execz .LBB0_7
; %bb.2:
	s_clause 0x1
	s_load_b64 s[2:3], s[0:1], 0x60
	s_load_b128 s[12:15], s[0:1], 0x10
	v_mul_u64_e32 v[4:5], s[4:5], v[0:1]
	v_mul_u64_e32 v[6:7], s[6:7], v[2:3]
	s_clause 0x1
	s_load_b64 s[4:5], s[0:1], 0x0
	s_load_b96 s[16:18], s[0:1], 0x20
	s_wait_kmcnt 0x0
	v_mul_u64_e32 v[8:9], s[2:3], v[2:3]
	s_load_b64 s[2:3], s[0:1], 0x70
	s_cmp_eq_u64 s[16:17], 2
	s_cselect_b32 vcc_lo, -1, 0
	s_delay_alu instid0(VALU_DEP_3) | instskip(NEXT) | instid1(VALU_DEP_3)
	v_lshlrev_b64_e32 v[4:5], 2, v[4:5]
	v_lshl_add_u64 v[6:7], v[6:7], 2, s[4:5]
	s_delay_alu instid0(VALU_DEP_1)
	v_add_nc_u64_e32 v[6:7], v[6:7], v[4:5]
	v_add_nc_u64_e32 v[4:5], s[4:5], v[4:5]
	s_lshl_b64 s[4:5], s[6:7], 2
	s_mov_b64 s[6:7], 0
	global_load_b32 v10, v[6:7], off
	s_wait_xcnt 0x0
	v_lshl_add_u64 v[6:7], v[8:9], 2, s[12:13]
	global_load_b32 v7, v[6:7], off
	s_wait_loadcnt 0x1
	s_wait_xcnt 0x0
	v_dual_mov_b32 v6, 0 :: v_dual_sub_f32 v8, s18, v10
	s_branch .LBB0_4
.LBB0_3:                                ;   in Loop: Header=BB0_4 Depth=1
	s_or_b32 exec_lo, exec_lo, s1
	v_add_nc_u64_e32 v[4:5], s[4:5], v[4:5]
	s_add_nc_u64 s[6:7], s[6:7], 1
	s_delay_alu instid0(SALU_CYCLE_1)
	s_cmp_eq_u64 s[10:11], s[6:7]
	s_cbranch_scc1 .LBB0_6
.LBB0_4:                                ; =>This Inner Loop Header: Depth=1
	s_mov_b32 s1, exec_lo
	v_cmpx_ne_u64_e64 s[6:7], v[2:3]
	s_cbranch_execz .LBB0_3
; %bb.5:                                ;   in Loop: Header=BB0_4 Depth=1
	global_load_b32 v9, v[4:5], off
	s_wait_loadcnt 0x0
	v_add_f32_e32 v9, v8, v9
	s_delay_alu instid0(VALU_DEP_1) | instskip(NEXT) | instid1(VALU_DEP_1)
	v_mul_f32_e32 v10, v9, v9
	v_cndmask_b32_e32 v10, v9, v10, vcc_lo
	s_delay_alu instid0(VALU_DEP_1) | instskip(SKIP_1) | instid1(VALU_DEP_1)
	v_fma_f32 v10, v7, v10, v6
	v_cmp_gt_f32_e64 s0, 0, v9
	v_cndmask_b32_e64 v6, v10, v6, s0
	s_branch .LBB0_3
.LBB0_6:
	s_clz_i32_u32 s0, s11
	s_wait_kmcnt 0x0
	v_mul_u64_e32 v[0:1], s[2:3], v[0:1]
	s_min_u32 s4, s0, 32
	s_delay_alu instid0(SALU_CYCLE_1) | instskip(NEXT) | instid1(SALU_CYCLE_1)
	s_lshl_b64 s[0:1], s[10:11], s4
	s_min_u32 s0, s0, 1
	s_delay_alu instid0(SALU_CYCLE_1) | instskip(SKIP_2) | instid1(SALU_CYCLE_3)
	s_or_b32 s0, s1, s0
	s_sub_co_i32 s1, 32, s4
	s_cvt_f32_u32 s0, s0
	v_ldexp_f32 v2, s0, s1
	s_delay_alu instid0(VALU_DEP_1) | instskip(SKIP_2) | instid1(VALU_DEP_2)
	v_div_scale_f32 v3, null, v2, v2, v6
	s_wait_loadcnt 0x0
	v_div_scale_f32 v7, vcc_lo, v6, v2, v6
	v_rcp_f32_e32 v4, v3
	v_nop
	s_delay_alu instid0(TRANS32_DEP_1) | instskip(SKIP_1) | instid1(VALU_DEP_2)
	v_fma_f32 v5, -v3, v4, 1.0
	v_lshl_add_u64 v[0:1], v[0:1], 2, s[14:15]
	v_fmac_f32_e32 v4, v5, v4
	s_delay_alu instid0(VALU_DEP_1) | instskip(NEXT) | instid1(VALU_DEP_1)
	v_mul_f32_e32 v5, v7, v4
	v_fma_f32 v8, -v3, v5, v7
	s_delay_alu instid0(VALU_DEP_1) | instskip(NEXT) | instid1(VALU_DEP_1)
	v_fmac_f32_e32 v5, v8, v4
	v_fma_f32 v3, -v3, v5, v7
	s_delay_alu instid0(VALU_DEP_1) | instskip(NEXT) | instid1(VALU_DEP_1)
	v_div_fmas_f32 v3, v3, v4, v5
	v_div_fixup_f32 v2, v3, v2, v6
	global_store_b32 v[0:1], v2, off
.LBB0_7:
	s_endpgm
	.section	.rodata,"a",@progbits
	.p2align	6, 0x0
	.amdhsa_kernel MultiMarginLossForward2d
		.amdhsa_group_segment_fixed_size 0
		.amdhsa_private_segment_fixed_size 0
		.amdhsa_kernarg_size 384
		.amdhsa_user_sgpr_count 2
		.amdhsa_user_sgpr_dispatch_ptr 0
		.amdhsa_user_sgpr_queue_ptr 0
		.amdhsa_user_sgpr_kernarg_segment_ptr 1
		.amdhsa_user_sgpr_dispatch_id 0
		.amdhsa_user_sgpr_kernarg_preload_length 0
		.amdhsa_user_sgpr_kernarg_preload_offset 0
		.amdhsa_user_sgpr_private_segment_size 0
		.amdhsa_wavefront_size32 1
		.amdhsa_uses_dynamic_stack 0
		.amdhsa_enable_private_segment 0
		.amdhsa_system_sgpr_workgroup_id_x 1
		.amdhsa_system_sgpr_workgroup_id_y 0
		.amdhsa_system_sgpr_workgroup_id_z 0
		.amdhsa_system_sgpr_workgroup_info 0
		.amdhsa_system_vgpr_workitem_id 0
		.amdhsa_next_free_vgpr 11
		.amdhsa_next_free_sgpr 19
		.amdhsa_named_barrier_count 0
		.amdhsa_reserve_vcc 1
		.amdhsa_float_round_mode_32 0
		.amdhsa_float_round_mode_16_64 0
		.amdhsa_float_denorm_mode_32 3
		.amdhsa_float_denorm_mode_16_64 3
		.amdhsa_fp16_overflow 0
		.amdhsa_memory_ordered 1
		.amdhsa_forward_progress 1
		.amdhsa_inst_pref_size 5
		.amdhsa_round_robin_scheduling 0
		.amdhsa_exception_fp_ieee_invalid_op 0
		.amdhsa_exception_fp_denorm_src 0
		.amdhsa_exception_fp_ieee_div_zero 0
		.amdhsa_exception_fp_ieee_overflow 0
		.amdhsa_exception_fp_ieee_underflow 0
		.amdhsa_exception_fp_ieee_inexact 0
		.amdhsa_exception_int_div_zero 0
	.end_amdhsa_kernel
	.text
.Lfunc_end0:
	.size	MultiMarginLossForward2d, .Lfunc_end0-MultiMarginLossForward2d
                                        ; -- End function
	.set MultiMarginLossForward2d.num_vgpr, 11
	.set MultiMarginLossForward2d.num_agpr, 0
	.set MultiMarginLossForward2d.numbered_sgpr, 19
	.set MultiMarginLossForward2d.num_named_barrier, 0
	.set MultiMarginLossForward2d.private_seg_size, 0
	.set MultiMarginLossForward2d.uses_vcc, 1
	.set MultiMarginLossForward2d.uses_flat_scratch, 0
	.set MultiMarginLossForward2d.has_dyn_sized_stack, 0
	.set MultiMarginLossForward2d.has_recursion, 0
	.set MultiMarginLossForward2d.has_indirect_call, 0
	.section	.AMDGPU.csdata,"",@progbits
; Kernel info:
; codeLenInByte = 612
; TotalNumSgprs: 21
; NumVgprs: 11
; ScratchSize: 0
; MemoryBound: 0
; FloatMode: 240
; IeeeMode: 1
; LDSByteSize: 0 bytes/workgroup (compile time only)
; SGPRBlocks: 0
; VGPRBlocks: 0
; NumSGPRsForWavesPerEU: 21
; NumVGPRsForWavesPerEU: 11
; NamedBarCnt: 0
; Occupancy: 16
; WaveLimiterHint : 1
; COMPUTE_PGM_RSRC2:SCRATCH_EN: 0
; COMPUTE_PGM_RSRC2:USER_SGPR: 2
; COMPUTE_PGM_RSRC2:TRAP_HANDLER: 0
; COMPUTE_PGM_RSRC2:TGID_X_EN: 1
; COMPUTE_PGM_RSRC2:TGID_Y_EN: 0
; COMPUTE_PGM_RSRC2:TGID_Z_EN: 0
; COMPUTE_PGM_RSRC2:TIDIG_COMP_CNT: 0
	.text
	.p2alignl 7, 3214868480
	.fill 96, 4, 3214868480
	.section	.AMDGPU.gpr_maximums,"",@progbits
	.set amdgpu.max_num_vgpr, 0
	.set amdgpu.max_num_agpr, 0
	.set amdgpu.max_num_sgpr, 0
	.text
	.type	__hip_cuid_5e192b9923b2879b,@object ; @__hip_cuid_5e192b9923b2879b
	.section	.bss,"aw",@nobits
	.globl	__hip_cuid_5e192b9923b2879b
__hip_cuid_5e192b9923b2879b:
	.byte	0                               ; 0x0
	.size	__hip_cuid_5e192b9923b2879b, 1

	.ident	"AMD clang version 22.0.0git (https://github.com/RadeonOpenCompute/llvm-project roc-7.2.4 26084 f58b06dce1f9c15707c5f808fd002e18c2accf7e)"
	.section	".note.GNU-stack","",@progbits
	.addrsig
	.addrsig_sym __hip_cuid_5e192b9923b2879b
	.amdgpu_metadata
---
amdhsa.kernels:
  - .args:
      - .actual_access:  read_only
        .address_space:  global
        .offset:         0
        .size:           8
        .value_kind:     global_buffer
      - .actual_access:  read_only
        .address_space:  global
        .offset:         8
        .size:           8
        .value_kind:     global_buffer
      - .actual_access:  read_only
        .address_space:  global
        .offset:         16
        .size:           8
        .value_kind:     global_buffer
      - .actual_access:  write_only
        .address_space:  global
        .offset:         24
        .size:           8
        .value_kind:     global_buffer
      - .offset:         32
        .size:           8
        .value_kind:     by_value
      - .offset:         40
        .size:           4
        .value_kind:     by_value
      - .offset:         48
        .size:           32
        .value_kind:     by_value
      - .offset:         80
        .size:           16
        .value_kind:     by_value
      - .offset:         96
        .size:           16
        .value_kind:     by_value
      - .offset:         112
        .size:           16
        .value_kind:     by_value
      - .offset:         128
        .size:           4
        .value_kind:     hidden_block_count_x
      - .offset:         132
        .size:           4
        .value_kind:     hidden_block_count_y
      - .offset:         136
        .size:           4
        .value_kind:     hidden_block_count_z
      - .offset:         140
        .size:           2
        .value_kind:     hidden_group_size_x
      - .offset:         142
        .size:           2
        .value_kind:     hidden_group_size_y
      - .offset:         144
        .size:           2
        .value_kind:     hidden_group_size_z
      - .offset:         146
        .size:           2
        .value_kind:     hidden_remainder_x
      - .offset:         148
        .size:           2
        .value_kind:     hidden_remainder_y
      - .offset:         150
        .size:           2
        .value_kind:     hidden_remainder_z
      - .offset:         168
        .size:           8
        .value_kind:     hidden_global_offset_x
      - .offset:         176
        .size:           8
        .value_kind:     hidden_global_offset_y
      - .offset:         184
        .size:           8
        .value_kind:     hidden_global_offset_z
      - .offset:         192
        .size:           2
        .value_kind:     hidden_grid_dims
    .group_segment_fixed_size: 0
    .kernarg_segment_align: 8
    .kernarg_segment_size: 384
    .language:       OpenCL C
    .language_version:
      - 2
      - 0
    .max_flat_workgroup_size: 1024
    .name:           MultiMarginLossForward2d
    .private_segment_fixed_size: 0
    .sgpr_count:     21
    .sgpr_spill_count: 0
    .symbol:         MultiMarginLossForward2d.kd
    .uniform_work_group_size: 1
    .uses_dynamic_stack: false
    .vgpr_count:     11
    .vgpr_spill_count: 0
    .wavefront_size: 32
amdhsa.target:   amdgcn-amd-amdhsa--gfx1250
amdhsa.version:
  - 1
  - 2
...

	.end_amdgpu_metadata
